;; amdgpu-corpus repo=zjin-lcf/HeCBench kind=compiled arch=gfx906 opt=O3
	.amdgcn_target "amdgcn-amd-amdhsa--gfx906"
	.amdhsa_code_object_version 6
	.text
	.protected	_Z14md5hash_kernelPiPhPjiiijjjj ; -- Begin function _Z14md5hash_kernelPiPhPjiiijjjj
	.globl	_Z14md5hash_kernelPiPhPjiiijjjj
	.p2align	8
	.type	_Z14md5hash_kernelPiPhPjiiijjjj,@function
_Z14md5hash_kernelPiPhPjiiijjjj:        ; @_Z14md5hash_kernelPiPhPjiiijjjj
; %bb.0:
	s_load_dwordx4 s[12:15], s[4:5], 0x18
	s_load_dword s0, s[4:5], 0x44
	s_waitcnt lgkmcnt(0)
	v_cvt_f32_u32_e32 v1, s14
	s_sub_i32 s1, 0, s14
	s_and_b32 s0, s0, 0xffff
	s_mul_i32 s6, s6, s0
	v_rcp_iflag_f32_e32 v1, v1
	v_add_u32_e32 v0, s6, v0
	s_cmp_lt_i32 s14, 1
	v_mul_f32_e32 v1, 0x4f7ffffe, v1
	v_cvt_u32_f32_e32 v1, v1
	v_mul_lo_u32 v2, s1, v1
	v_mul_hi_u32 v3, v1, v2
	v_mul_lo_u32 v2, v0, s14
	v_add_u32_e32 v1, v1, v3
	v_mul_hi_u32 v0, v2, v1
	v_mul_lo_u32 v3, v0, s14
	v_add_u32_e32 v4, 1, v0
	v_sub_u32_e32 v3, v2, v3
	v_cmp_le_u32_e32 vcc, s14, v3
	v_cndmask_b32_e32 v0, v0, v4, vcc
	v_subrev_u32_e32 v4, s14, v3
	v_cndmask_b32_e32 v3, v3, v4, vcc
	v_add_u32_e32 v4, 1, v0
	v_cmp_le_u32_e32 vcc, s14, v3
	v_cndmask_b32_e32 v0, v0, v4, vcc
	v_mul_hi_u32 v3, v0, v1
	v_mul_lo_u32 v4, v3, s14
	v_add_u32_e32 v5, 1, v3
	v_sub_u32_e32 v4, v0, v4
	v_cmp_le_u32_e32 vcc, s14, v4
	v_cndmask_b32_e32 v5, v3, v5, vcc
	v_subrev_u32_e32 v3, s14, v4
	v_cndmask_b32_e32 v3, v4, v3, vcc
	v_add_u32_e32 v4, 1, v5
	v_cmp_le_u32_e32 vcc, s14, v3
	v_cndmask_b32_e32 v4, v5, v4, vcc
	v_mul_hi_u32 v5, v4, v1
	v_mul_lo_u32 v6, v5, s14
	v_add_u32_e32 v7, 1, v5
	v_sub_u32_e32 v4, v4, v6
	v_cmp_le_u32_e64 s[0:1], s14, v4
	v_subrev_u32_e32 v6, s14, v4
	v_cndmask_b32_e64 v5, v5, v7, s[0:1]
	v_cndmask_b32_e64 v4, v4, v6, s[0:1]
	v_add_u32_e32 v6, 1, v5
	v_cmp_le_u32_e64 s[0:1], s14, v4
	v_cndmask_b32_e64 v5, v5, v6, s[0:1]
	v_mul_hi_u32 v6, v5, v1
	v_mul_lo_u32 v7, v6, s14
	v_add_u32_e32 v8, 1, v6
	v_sub_u32_e32 v5, v5, v7
	v_cmp_le_u32_e64 s[2:3], s14, v5
	v_subrev_u32_e32 v7, s14, v5
	v_cndmask_b32_e64 v6, v6, v8, s[2:3]
	v_cndmask_b32_e64 v5, v5, v7, s[2:3]
	v_add_u32_e32 v7, 1, v6
	v_cmp_le_u32_e64 s[2:3], s14, v5
	v_cndmask_b32_e64 v6, v6, v7, s[2:3]
	v_mul_hi_u32 v8, v6, v1
	v_mul_lo_u32 v7, v8, s14
	v_add_u32_e32 v9, 1, v8
	v_sub_u32_e32 v6, v6, v7
	v_subrev_u32_e32 v7, s14, v6
	v_cmp_le_u32_e64 s[6:7], s14, v6
	v_cndmask_b32_e64 v7, v6, v7, s[6:7]
	v_cndmask_b32_e64 v6, v8, v9, s[6:7]
	v_add_u32_e32 v8, 1, v6
	v_cmp_le_u32_e64 s[6:7], s14, v7
	v_cndmask_b32_e64 v6, v6, v8, s[6:7]
	v_mul_hi_u32 v8, v6, v1
	v_mul_lo_u32 v9, v8, s14
	v_add_u32_e32 v10, 1, v8
	v_sub_u32_e32 v9, v6, v9
	v_cmp_le_u32_e64 s[8:9], s14, v9
	v_cndmask_b32_e64 v8, v8, v10, s[8:9]
	v_subrev_u32_e32 v10, s14, v9
	v_cndmask_b32_e64 v9, v9, v10, s[8:9]
	v_add_u32_e32 v10, 1, v8
	v_cmp_le_u32_e64 s[8:9], s14, v9
	v_cndmask_b32_e64 v8, v8, v10, s[8:9]
	v_mul_hi_u32 v9, v8, v1
	v_mul_lo_u32 v10, v9, s14
	v_sub_u32_e32 v10, v8, v10
	v_subrev_u32_e32 v11, s14, v10
	v_cmp_le_u32_e64 s[8:9], s14, v10
	v_cndmask_b32_e64 v10, v10, v11, s[8:9]
	v_cmp_le_u32_e64 s[10:11], s14, v10
	s_cbranch_scc1 .LBB0_37
; %bb.1:
	v_add_u32_e32 v10, 1, v9
	v_cndmask_b32_e64 v9, v9, v10, s[8:9]
	v_add_u32_e32 v10, 1, v9
	v_cndmask_b32_e64 v11, v9, v10, s[10:11]
	v_mad_u64_u32 v[9:10], s[8:9], v11, v1, 0
	v_subrev_u32_e32 v1, s14, v3
	v_cndmask_b32_e32 v1, v3, v1, vcc
	v_subrev_u32_e32 v3, s14, v4
	v_cndmask_b32_e64 v9, v4, v3, s[0:1]
	v_subrev_u32_e32 v3, s14, v5
	v_cndmask_b32_e64 v5, v5, v3, s[2:3]
	v_subrev_u32_e32 v3, s14, v7
	v_mul_lo_u32 v10, v10, s14
	v_cndmask_b32_e64 v7, v7, v3, s[6:7]
	v_mul_lo_u32 v12, v8, s14
	v_lshlrev_b16_e32 v3, 8, v9
	v_lshlrev_b16_e32 v4, 8, v7
	v_or_b32_sdwa v3, v1, v3 dst_sel:DWORD dst_unused:UNUSED_PAD src0_sel:BYTE_0 src1_sel:DWORD
	v_or_b32_sdwa v4, v5, v4 dst_sel:WORD_1 dst_unused:UNUSED_PAD src0_sel:BYTE_0 src1_sel:DWORD
	v_or_b32_sdwa v3, v3, v4 dst_sel:DWORD dst_unused:UNUSED_PAD src0_sel:WORD_0 src1_sel:DWORD
	v_sub_u32_e32 v4, v11, v10
	v_mul_lo_u32 v0, v0, s14
	v_mul_lo_u32 v13, v11, s14
	v_sub_u32_e32 v12, v6, v12
	v_subrev_u32_e32 v6, s14, v4
	v_cmp_le_u32_e32 vcc, s14, v4
	v_cndmask_b32_e32 v4, v4, v6, vcc
	v_subrev_u32_e32 v6, s14, v4
	v_cmp_le_u32_e32 vcc, s14, v4
	v_cndmask_b32_e32 v11, v4, v6, vcc
	v_sub_u32_e32 v4, v2, v0
	v_lshlrev_b32_e32 v0, 16, v9
	s_mov_b32 s0, 0x4020c0c
	v_sub_u32_e32 v13, v8, v13
	v_perm_b32 v0, v5, v0, s0
	v_lshlrev_b32_e32 v1, 8, v1
	s_mov_b32 s1, 0xff00
	s_load_dwordx2 s[2:3], s[4:5], 0x10
	s_load_dwordx4 s[8:11], s[4:5], 0x0
	s_load_dwordx4 s[16:19], s[4:5], 0x28
	v_and_or_b32 v5, v1, s1, v0
	v_lshlrev_b32_e32 v0, 16, v13
	v_lshlrev_b32_e32 v1, 8, v12
	v_perm_b32 v0, v11, v0, s0
	v_and_b32_e32 v1, 0xff00, v1
	v_and_b32_e32 v6, 0xff, v7
	s_mov_b32 s0, 0xc0c0007
	v_or3_b32 v6, v0, v1, v6
	v_perm_b32 v0, v3, v12, s0
	s_mov_b32 s0, 0xc0c0004
	s_lshl_b32 s25, s13, 3
	v_perm_b32 v1, v13, v11, s0
	v_or_b32_e32 v7, 0x80000000, v6
	v_or_b32_e32 v8, 0x800000, v6
	;; [unrolled: 1-line block ×4, first 2 shown]
	s_add_i32 s22, s25, 0xa679438e
	s_add_i32 s23, s25, 0xc33707d6
	;; [unrolled: 1-line block ×4, first 2 shown]
	s_mov_b32 s26, 0xefcdab89
	s_mov_b32 s27, 0x455a14ed
	;; [unrolled: 1-line block ×26, first 2 shown]
	v_mov_b32_e32 v11, 0
	v_lshl_or_b32 v1, v1, 16, v0
	s_mov_b32 s53, 0xffeff47d
	s_mov_b32 s54, 0x85845dd1
	;; [unrolled: 1-line block ×6, first 2 shown]
	s_waitcnt lgkmcnt(0)
	s_mov_b32 s19, 0xf7537e82
	s_mov_b32 s59, 0xbd3af235
	;; [unrolled: 1-line block ×3, first 2 shown]
	s_mov_b64 s[4:5], 0
                                        ; implicit-def: $sgpr6_sgpr7
	s_branch .LBB0_4
.LBB0_2:                                ;   in Loop: Header=BB0_4 Depth=1
	s_or_b64 exec, exec, s[0:1]
	s_add_i32 s14, s14, -1
	s_cmp_eq_u32 s14, 0
	s_cselect_b64 s[0:1], -1, 0
	s_andn2_b64 s[6:7], s[6:7], exec
	s_and_b64 s[0:1], s[0:1], exec
	v_add_u16_e32 v4, 1, v4
	v_add_u32_e32 v2, 1, v2
	s_or_b64 s[6:7], s[6:7], s[0:1]
.LBB0_3:                                ;   in Loop: Header=BB0_4 Depth=1
	s_or_b64 exec, exec, s[20:21]
	s_and_b64 s[0:1], exec, s[6:7]
	s_or_b64 s[4:5], s[0:1], s[4:5]
	s_andn2_b64 exec, exec, s[4:5]
	s_cbranch_execz .LBB0_37
.LBB0_4:                                ; =>This Inner Loop Header: Depth=1
	v_cmp_gt_i32_e32 vcc, s12, v2
	s_or_b64 s[6:7], s[6:7], exec
	s_and_saveexec_b64 s[20:21], vcc
	s_cbranch_execz .LBB0_3
; %bb.5:                                ;   in Loop: Header=BB0_4 Depth=1
	s_cmp_lt_i32 s13, 4
	s_mov_b64 s[0:1], -1
                                        ; implicit-def: $vgpr0
	s_cbranch_scc1 .LBB0_20
; %bb.6:                                ;   in Loop: Header=BB0_4 Depth=1
	s_cmp_lt_i32 s13, 6
                                        ; implicit-def: $vgpr0
	s_cbranch_scc1 .LBB0_14
; %bb.7:                                ;   in Loop: Header=BB0_4 Depth=1
	s_cmp_lt_i32 s13, 7
                                        ; implicit-def: $vgpr0
	s_cbranch_scc1 .LBB0_11
; %bb.8:                                ;   in Loop: Header=BB0_4 Depth=1
	s_cmp_eq_u32 s13, 7
	v_mov_b32_e32 v0, v6
	s_cbranch_scc0 .LBB0_10
; %bb.9:                                ;   in Loop: Header=BB0_4 Depth=1
	v_mov_b32_e32 v0, v7
.LBB0_10:                               ;   in Loop: Header=BB0_4 Depth=1
	s_mov_b64 s[0:1], 0
.LBB0_11:                               ;   in Loop: Header=BB0_4 Depth=1
	s_andn2_b64 vcc, exec, s[0:1]
	s_cbranch_vccnz .LBB0_13
; %bb.12:                               ;   in Loop: Header=BB0_4 Depth=1
	v_mov_b32_e32 v0, v8
.LBB0_13:                               ;   in Loop: Header=BB0_4 Depth=1
	s_mov_b64 s[0:1], 0
.LBB0_14:                               ;   in Loop: Header=BB0_4 Depth=1
	s_andn2_b64 vcc, exec, s[0:1]
	s_cbranch_vccnz .LBB0_19
; %bb.15:                               ;   in Loop: Header=BB0_4 Depth=1
	s_cmp_gt_i32 s13, 4
	s_mov_b64 s[0:1], -1
	s_cbranch_scc0 .LBB0_17
; %bb.16:                               ;   in Loop: Header=BB0_4 Depth=1
	s_mov_b64 s[0:1], 0
.LBB0_17:                               ;   in Loop: Header=BB0_4 Depth=1
	s_andn2_b64 vcc, exec, s[0:1]
	v_mov_b32_e32 v0, v9
	s_cbranch_vccnz .LBB0_19
; %bb.18:                               ;   in Loop: Header=BB0_4 Depth=1
	v_mov_b32_e32 v0, v10
.LBB0_19:                               ;   in Loop: Header=BB0_4 Depth=1
	s_mov_b64 s[0:1], 0
.LBB0_20:                               ;   in Loop: Header=BB0_4 Depth=1
	s_andn2_b64 vcc, exec, s[0:1]
	s_movk_i32 s0, 0xff
	v_and_or_b32 v12, v4, s0, v5
	s_cbranch_vccnz .LBB0_35
; %bb.21:                               ;   in Loop: Header=BB0_4 Depth=1
	s_cmp_lt_i32 s13, 2
	s_mov_b64 s[0:1], -1
                                        ; implicit-def: $vgpr13
	s_cbranch_scc1 .LBB0_27
; %bb.22:                               ;   in Loop: Header=BB0_4 Depth=1
	s_cmp_gt_i32 s13, 2
                                        ; implicit-def: $vgpr13
	s_cbranch_scc0 .LBB0_24
; %bb.23:                               ;   in Loop: Header=BB0_4 Depth=1
	v_or_b32_e32 v13, 0x80000000, v12
	s_mov_b64 s[0:1], 0
.LBB0_24:                               ;   in Loop: Header=BB0_4 Depth=1
	s_andn2_b64 vcc, exec, s[0:1]
	s_cbranch_vccnz .LBB0_26
; %bb.25:                               ;   in Loop: Header=BB0_4 Depth=1
	v_or_b32_e32 v13, 0x800000, v12
.LBB0_26:                               ;   in Loop: Header=BB0_4 Depth=1
	s_mov_b64 s[0:1], 0
.LBB0_27:                               ;   in Loop: Header=BB0_4 Depth=1
	s_andn2_b64 vcc, exec, s[0:1]
	s_cbranch_vccnz .LBB0_34
; %bb.28:                               ;   in Loop: Header=BB0_4 Depth=1
	s_cmp_gt_i32 s13, 0
	s_mov_b64 s[0:1], -1
                                        ; implicit-def: $vgpr13
	s_cbranch_scc0 .LBB0_30
; %bb.29:                               ;   in Loop: Header=BB0_4 Depth=1
	v_or_b32_e32 v13, 0x8000, v12
	s_mov_b64 s[0:1], 0
.LBB0_30:                               ;   in Loop: Header=BB0_4 Depth=1
	s_andn2_b64 vcc, exec, s[0:1]
	s_cbranch_vccnz .LBB0_34
; %bb.31:                               ;   in Loop: Header=BB0_4 Depth=1
	s_cmp_lg_u32 s13, 0
	s_cbranch_scc1 .LBB0_33
; %bb.32:                               ;   in Loop: Header=BB0_4 Depth=1
	v_or_b32_e32 v12, 0x80, v12
.LBB0_33:                               ;   in Loop: Header=BB0_4 Depth=1
	v_mov_b32_e32 v13, v12
.LBB0_34:                               ;   in Loop: Header=BB0_4 Depth=1
	v_mov_b32_e32 v0, v6
	v_mov_b32_e32 v12, v13
.LBB0_35:                               ;   in Loop: Header=BB0_4 Depth=1
	v_add_u32_e32 v13, 0xd76aa477, v12
	v_alignbit_b32 v13, v13, v13, 25
	v_sub_u32_e32 v15, 0x10325476, v13
	v_add_u32_e32 v14, 0xefcdab89, v13
	v_and_b32_e32 v15, 0x98badcfe, v15
	v_and_or_b32 v15, v14, s26, v15
	s_mov_b32 s0, 0xf8fa0bcc
	v_add3_u32 v15, v0, v15, s0
	v_alignbit_b32 v15, v15, v15, 20
	v_add_u32_e32 v15, v15, v14
	v_bfi_b32 v16, v15, v14, s26
	v_add_u32_e32 v16, 0xbcdb4dd9, v16
	v_alignbit_b32 v16, v16, v16, 15
	v_add_u32_e32 v16, v16, v15
	v_xor_b32_e32 v17, v15, v14
	v_and_b32_e32 v17, v17, v16
	s_mov_b32 s0, 0xb18b7a77
	v_xad_u32 v14, v17, v14, s0
	v_alignbit_b32 v14, v14, v14, 10
	v_add_u32_e32 v14, v14, v16
	v_bfi_b32 v17, v14, v16, v15
	s_mov_b32 s0, 0xe549bb38
	v_add3_u32 v13, v13, v17, s0
	v_alignbit_b32 v13, v13, v13, 25
	v_add_u32_e32 v13, v13, v14
	v_bfi_b32 v17, v13, v14, v16
	s_mov_b32 s0, 0x4787c62a
	v_add3_u32 v15, v15, v17, s0
	;; [unrolled: 5-line block ×10, first 2 shown]
	v_alignbit_b32 v15, v15, v15, 20
	v_add_u32_e32 v15, v15, v13
	v_bfi_b32 v17, v15, v13, v14
	v_add3_u32 v16, s22, v16, v17
	v_alignbit_b32 v16, v16, v16, 15
	v_add_u32_e32 v16, v16, v15
	v_bfi_b32 v17, v16, v15, v13
	s_mov_b32 s0, 0x49b40821
	v_add3_u32 v14, v14, v17, s0
	v_alignbit_b32 v14, v14, v14, 10
	v_add_u32_e32 v14, v14, v16
	v_bfi_b32 v17, v15, v14, v16
	v_add_u32_e32 v13, v0, v13
	s_mov_b32 s0, 0xf61e2562
	v_add3_u32 v13, v13, v17, s0
	v_alignbit_b32 v13, v13, v13, 27
	v_add_u32_e32 v13, v13, v14
	v_bfi_b32 v17, v16, v13, v14
	s_mov_b32 s0, 0xc040b340
	v_add3_u32 v15, v15, v17, s0
	v_alignbit_b32 v15, v15, v15, 23
	v_add_u32_e32 v15, v15, v13
	v_bfi_b32 v17, v14, v15, v13
	;; [unrolled: 5-line block ×3, first 2 shown]
	v_add_u32_e32 v14, v12, v14
	s_mov_b32 s0, 0xe9b6c7aa
	v_add3_u32 v14, v14, v17, s0
	v_alignbit_b32 v14, v14, v14, 12
	v_add_u32_e32 v14, v14, v16
	v_bfi_b32 v17, v15, v14, v16
	s_mov_b32 s0, 0xd62f105d
	v_add3_u32 v13, v13, v17, s0
	v_alignbit_b32 v13, v13, v13, 27
	v_add_u32_e32 v13, v13, v14
	v_bfi_b32 v17, v16, v13, v14
	;; [unrolled: 5-line block ×6, first 2 shown]
	v_add3_u32 v15, s23, v15, v17
	v_alignbit_b32 v15, v15, v15, 23
	v_add_u32_e32 v15, v15, v13
	v_bfi_b32 v17, v14, v15, v13
	s_mov_b32 s0, 0xf4d50d87
	v_add3_u32 v16, v16, v17, s0
	v_alignbit_b32 v16, v16, v16, 18
	v_add_u32_e32 v16, v16, v15
	v_bfi_b32 v17, v13, v16, v15
	v_add3_u32 v14, v14, v17, s27
	v_alignbit_b32 v14, v14, v14, 12
	v_add_u32_e32 v14, v14, v16
	v_bfi_b32 v17, v15, v14, v16
	;; [unrolled: 4-line block ×5, first 2 shown]
	v_add3_u32 v14, v14, v17, s31
	v_alignbit_b32 v14, v14, v14, 12
	v_add_u32_e32 v14, v14, v16
	v_xor_b32_e32 v17, v14, v16
	v_xor_b32_e32 v18, v17, v15
	v_add3_u32 v13, v13, v18, s33
	v_alignbit_b32 v13, v13, v13, 28
	v_add_u32_e32 v13, v13, v14
	v_xor_b32_e32 v17, v13, v17
	v_add3_u32 v15, v15, v17, s34
	v_alignbit_b32 v15, v15, v15, 21
	v_add_u32_e32 v15, v15, v13
	v_xor_b32_e32 v17, v15, v13
	v_xor_b32_e32 v18, v17, v14
	v_add3_u32 v16, v16, v18, s35
	v_alignbit_b32 v16, v16, v16, 16
	v_add_u32_e32 v16, v16, v15
	v_xor_b32_e32 v17, v17, v16
	v_add3_u32 v14, s24, v14, v17
	v_alignbit_b32 v14, v14, v14, 9
	v_add_u32_e32 v14, v14, v16
	v_xor_b32_e32 v17, v16, v15
	v_xor_b32_e32 v17, v17, v14
	v_add_u32_e32 v13, v0, v13
	v_add3_u32 v13, v13, v17, s36
	v_alignbit_b32 v13, v13, v13, 28
	v_add_u32_e32 v13, v13, v14
	v_xor_b32_e32 v17, v14, v16
	v_xor_b32_e32 v17, v17, v13
	v_add3_u32 v15, v15, v17, s37
	v_alignbit_b32 v15, v15, v15, 21
	v_add_u32_e32 v15, v15, v13
	v_xor_b32_e32 v17, v13, v14
	v_xor_b32_e32 v17, v17, v15
	;; [unrolled: 5-line block ×5, first 2 shown]
	v_add_u32_e32 v15, v12, v15
	v_add3_u32 v15, v15, v17, s41
	v_alignbit_b32 v15, v15, v15, 21
	v_add_u32_e32 v15, v15, v13
	v_xor_b32_e32 v17, v13, v14
	v_xor_b32_e32 v17, v17, v15
	v_add3_u32 v16, v16, v17, s42
	v_alignbit_b32 v16, v16, v16, 16
	v_add_u32_e32 v16, v16, v15
	v_xor_b32_e32 v17, v15, v13
	v_xor_b32_e32 v17, v17, v16
	;; [unrolled: 5-line block ×6, first 2 shown]
	v_add3_u32 v14, v14, v17, s47
	v_alignbit_b32 v14, v14, v14, 9
	v_add_u32_e32 v14, v14, v16
	v_bfi_b32 v17, v15, v14, -1
	v_xor_b32_e32 v17, v17, v16
	v_add_u32_e32 v12, v12, v13
	v_add3_u32 v12, v12, v17, s48
	v_alignbit_b32 v12, v12, v12, 26
	v_add_u32_e32 v12, v12, v14
	v_bfi_b32 v13, v16, v12, -1
	v_xor_b32_e32 v13, v13, v14
	v_add3_u32 v13, v15, v13, s49
	v_alignbit_b32 v13, v13, v13, 22
	v_add_u32_e32 v13, v13, v12
	v_bfi_b32 v15, v14, v13, -1
	v_xor_b32_e32 v15, v15, v12
	;; [unrolled: 5-line block ×7, first 2 shown]
	v_add_u32_e32 v0, v0, v14
	v_add3_u32 v0, v0, v16, s54
	v_alignbit_b32 v0, v0, v0, 11
	v_add_u32_e32 v0, v0, v15
	v_bfi_b32 v14, v13, v0, -1
	v_xor_b32_e32 v14, v14, v15
	v_add3_u32 v12, v12, v14, s55
	v_alignbit_b32 v12, v12, v12, 26
	v_add_u32_e32 v12, v12, v0
	v_bfi_b32 v14, v15, v12, -1
	v_xor_b32_e32 v14, v14, v0
	;; [unrolled: 5-line block ×6, first 2 shown]
	v_add3_u32 v13, v13, v15, s59
	v_alignbit_b32 v13, v13, v13, 22
	v_add_u32_e32 v13, v13, v12
	v_bfi_b32 v15, v0, v13, -1
	v_xad_u32 v14, v15, v12, v14
	v_add_u32_e32 v14, 0x2ad7d2bb, v14
	v_alignbit_b32 v14, v14, v14, 17
	v_add_u32_e32 v14, v14, v13
	v_bfi_b32 v15, v12, v14, -1
	v_xad_u32 v0, v15, v13, v0
	v_add_u32_e32 v0, 0xeb86d391, v0
	v_alignbit_b32 v0, v0, v0, 11
	v_add_u32_e32 v12, 0x67452301, v12
	v_add3_u32 v0, v14, v0, s26
	v_cmp_eq_u32_e32 vcc, s15, v12
	v_cmp_eq_u32_e64 s[0:1], s16, v0
	v_add_u32_e32 v0, 0x98badcfe, v14
	s_and_b64 s[0:1], vcc, s[0:1]
	v_cmp_eq_u32_e32 vcc, s17, v0
	v_add_u32_e32 v0, 0x10325476, v13
	s_and_b64 s[0:1], s[0:1], vcc
	v_cmp_eq_u32_e32 vcc, s18, v0
	s_and_b64 s[62:63], s[0:1], vcc
	s_and_saveexec_b64 s[0:1], s[62:63]
	s_cbranch_execz .LBB0_2
; %bb.36:                               ;   in Loop: Header=BB0_4 Depth=1
	v_perm_b32 v0, v4, v3, s60
	v_mov_b32_e32 v12, s15
	v_mov_b32_e32 v13, s16
	;; [unrolled: 1-line block ×4, first 2 shown]
	global_store_dword v11, v2, s[8:9]
	global_store_dwordx2 v11, v[0:1], s[10:11]
	global_store_dwordx4 v11, v[12:15], s[2:3]
	s_branch .LBB0_2
.LBB0_37:
	s_endpgm
	.section	.rodata,"a",@progbits
	.p2align	6, 0x0
	.amdhsa_kernel _Z14md5hash_kernelPiPhPjiiijjjj
		.amdhsa_group_segment_fixed_size 0
		.amdhsa_private_segment_fixed_size 0
		.amdhsa_kernarg_size 312
		.amdhsa_user_sgpr_count 6
		.amdhsa_user_sgpr_private_segment_buffer 1
		.amdhsa_user_sgpr_dispatch_ptr 0
		.amdhsa_user_sgpr_queue_ptr 0
		.amdhsa_user_sgpr_kernarg_segment_ptr 1
		.amdhsa_user_sgpr_dispatch_id 0
		.amdhsa_user_sgpr_flat_scratch_init 0
		.amdhsa_user_sgpr_private_segment_size 0
		.amdhsa_uses_dynamic_stack 0
		.amdhsa_system_sgpr_private_segment_wavefront_offset 0
		.amdhsa_system_sgpr_workgroup_id_x 1
		.amdhsa_system_sgpr_workgroup_id_y 0
		.amdhsa_system_sgpr_workgroup_id_z 0
		.amdhsa_system_sgpr_workgroup_info 0
		.amdhsa_system_vgpr_workitem_id 0
		.amdhsa_next_free_vgpr 19
		.amdhsa_next_free_sgpr 64
		.amdhsa_reserve_vcc 1
		.amdhsa_reserve_flat_scratch 0
		.amdhsa_float_round_mode_32 0
		.amdhsa_float_round_mode_16_64 0
		.amdhsa_float_denorm_mode_32 3
		.amdhsa_float_denorm_mode_16_64 3
		.amdhsa_dx10_clamp 1
		.amdhsa_ieee_mode 1
		.amdhsa_fp16_overflow 0
		.amdhsa_exception_fp_ieee_invalid_op 0
		.amdhsa_exception_fp_denorm_src 0
		.amdhsa_exception_fp_ieee_div_zero 0
		.amdhsa_exception_fp_ieee_overflow 0
		.amdhsa_exception_fp_ieee_underflow 0
		.amdhsa_exception_fp_ieee_inexact 0
		.amdhsa_exception_int_div_zero 0
	.end_amdhsa_kernel
	.text
.Lfunc_end0:
	.size	_Z14md5hash_kernelPiPhPjiiijjjj, .Lfunc_end0-_Z14md5hash_kernelPiPhPjiiijjjj
                                        ; -- End function
	.set _Z14md5hash_kernelPiPhPjiiijjjj.num_vgpr, 19
	.set _Z14md5hash_kernelPiPhPjiiijjjj.num_agpr, 0
	.set _Z14md5hash_kernelPiPhPjiiijjjj.numbered_sgpr, 64
	.set _Z14md5hash_kernelPiPhPjiiijjjj.num_named_barrier, 0
	.set _Z14md5hash_kernelPiPhPjiiijjjj.private_seg_size, 0
	.set _Z14md5hash_kernelPiPhPjiiijjjj.uses_vcc, 1
	.set _Z14md5hash_kernelPiPhPjiiijjjj.uses_flat_scratch, 0
	.set _Z14md5hash_kernelPiPhPjiiijjjj.has_dyn_sized_stack, 0
	.set _Z14md5hash_kernelPiPhPjiiijjjj.has_recursion, 0
	.set _Z14md5hash_kernelPiPhPjiiijjjj.has_indirect_call, 0
	.section	.AMDGPU.csdata,"",@progbits
; Kernel info:
; codeLenInByte = 3744
; TotalNumSgprs: 68
; NumVgprs: 19
; ScratchSize: 0
; MemoryBound: 0
; FloatMode: 240
; IeeeMode: 1
; LDSByteSize: 0 bytes/workgroup (compile time only)
; SGPRBlocks: 8
; VGPRBlocks: 4
; NumSGPRsForWavesPerEU: 68
; NumVGPRsForWavesPerEU: 19
; Occupancy: 10
; WaveLimiterHint : 0
; COMPUTE_PGM_RSRC2:SCRATCH_EN: 0
; COMPUTE_PGM_RSRC2:USER_SGPR: 6
; COMPUTE_PGM_RSRC2:TRAP_HANDLER: 0
; COMPUTE_PGM_RSRC2:TGID_X_EN: 1
; COMPUTE_PGM_RSRC2:TGID_Y_EN: 0
; COMPUTE_PGM_RSRC2:TGID_Z_EN: 0
; COMPUTE_PGM_RSRC2:TIDIG_COMP_CNT: 0
	.section	.AMDGPU.gpr_maximums,"",@progbits
	.set amdgpu.max_num_vgpr, 0
	.set amdgpu.max_num_agpr, 0
	.set amdgpu.max_num_sgpr, 0
	.section	.AMDGPU.csdata,"",@progbits
	.type	__hip_cuid_a4eb6f9d5ae4aab8,@object ; @__hip_cuid_a4eb6f9d5ae4aab8
	.section	.bss,"aw",@nobits
	.globl	__hip_cuid_a4eb6f9d5ae4aab8
__hip_cuid_a4eb6f9d5ae4aab8:
	.byte	0                               ; 0x0
	.size	__hip_cuid_a4eb6f9d5ae4aab8, 1

	.ident	"AMD clang version 22.0.0git (https://github.com/RadeonOpenCompute/llvm-project roc-7.2.4 26084 f58b06dce1f9c15707c5f808fd002e18c2accf7e)"
	.section	".note.GNU-stack","",@progbits
	.addrsig
	.addrsig_sym __hip_cuid_a4eb6f9d5ae4aab8
	.amdgpu_metadata
---
amdhsa.kernels:
  - .args:
      - .actual_access:  write_only
        .address_space:  global
        .offset:         0
        .size:           8
        .value_kind:     global_buffer
      - .actual_access:  write_only
        .address_space:  global
        .offset:         8
        .size:           8
        .value_kind:     global_buffer
      - .actual_access:  write_only
        .address_space:  global
        .offset:         16
        .size:           8
        .value_kind:     global_buffer
      - .offset:         24
        .size:           4
        .value_kind:     by_value
      - .offset:         28
        .size:           4
        .value_kind:     by_value
      - .offset:         32
        .size:           4
        .value_kind:     by_value
      - .offset:         36
        .size:           4
        .value_kind:     by_value
      - .offset:         40
        .size:           4
        .value_kind:     by_value
      - .offset:         44
        .size:           4
        .value_kind:     by_value
      - .offset:         48
        .size:           4
        .value_kind:     by_value
      - .offset:         56
        .size:           4
        .value_kind:     hidden_block_count_x
      - .offset:         60
        .size:           4
        .value_kind:     hidden_block_count_y
      - .offset:         64
        .size:           4
        .value_kind:     hidden_block_count_z
      - .offset:         68
        .size:           2
        .value_kind:     hidden_group_size_x
      - .offset:         70
        .size:           2
        .value_kind:     hidden_group_size_y
      - .offset:         72
        .size:           2
        .value_kind:     hidden_group_size_z
      - .offset:         74
        .size:           2
        .value_kind:     hidden_remainder_x
      - .offset:         76
        .size:           2
        .value_kind:     hidden_remainder_y
      - .offset:         78
        .size:           2
        .value_kind:     hidden_remainder_z
      - .offset:         96
        .size:           8
        .value_kind:     hidden_global_offset_x
      - .offset:         104
        .size:           8
        .value_kind:     hidden_global_offset_y
      - .offset:         112
        .size:           8
        .value_kind:     hidden_global_offset_z
      - .offset:         120
        .size:           2
        .value_kind:     hidden_grid_dims
    .group_segment_fixed_size: 0
    .kernarg_segment_align: 8
    .kernarg_segment_size: 312
    .language:       OpenCL C
    .language_version:
      - 2
      - 0
    .max_flat_workgroup_size: 1024
    .name:           _Z14md5hash_kernelPiPhPjiiijjjj
    .private_segment_fixed_size: 0
    .sgpr_count:     68
    .sgpr_spill_count: 0
    .symbol:         _Z14md5hash_kernelPiPhPjiiijjjj.kd
    .uniform_work_group_size: 1
    .uses_dynamic_stack: false
    .vgpr_count:     19
    .vgpr_spill_count: 0
    .wavefront_size: 64
amdhsa.target:   amdgcn-amd-amdhsa--gfx906
amdhsa.version:
  - 1
  - 2
...

	.end_amdgpu_metadata
